;; amdgpu-corpus repo=triton-lang/triton kind=triton arch=gfx950 opt=O3 lang=triton
	.amdgcn_target "amdgcn-amd-amdhsa--gfx950"
	.amdhsa_code_object_version 5
	.text
	.globl	layer_norm_fwd_kernel           ; -- Begin function layer_norm_fwd_kernel
	.p2align	8
	.type	layer_norm_fwd_kernel,@function
layer_norm_fwd_kernel:                  ; @layer_norm_fwd_kernel
.Lfunc_begin0:
	.cfi_sections .debug_frame
	.cfi_startproc
; %bb.74:
	.file	1 "/root/src/amdgpu-assembly/repos/triton-lang__triton-aot" "layer_norm.py"
	.loc	1 7 0 prologue_end              ; layer_norm.py:7:0
	s_load_dwordx2 s[2:3], s[0:1], 0x0
	s_load_dwordx8 s[4:11], s[0:1], 0x8
	s_load_dwordx4 s[12:15], s[0:1], 0x28
	s_waitcnt lgkmcnt(0)
	s_branch .LBB0_0
	.loc	1 0 0 is_stmt 0                 ; :0:0
.Ltmp0:
	.p2align	8
; %bb.75:
.LBB0_0:
.Ltmp1:
	.loc	1 10 15 is_stmt 1               ; layer_norm.py:10:15
	s_mul_i32 s18, s14, s16
	.loc	1 10 9 is_stmt 0                ; layer_norm.py:10:9
	s_ashr_i32 s19, s18, 31
	.loc	1 11 9 is_stmt 1                ; layer_norm.py:11:9
	s_lshl_b64 s[28:29], s[18:19], 2
	.loc	1 28 25                         ; layer_norm.py:28:25
	v_readfirstlane_b32 s17, v0
	.loc	1 11 9                          ; layer_norm.py:11:9
	s_add_u32 s26, s2, s28
	s_addc_u32 s27, s3, s29
	.loc	1 15 34                         ; layer_norm.py:15:34
	v_and_b32_e32 v17, 63, v0
	s_and_b32 s3, s17, 0x1c0
	v_or_b32_e32 v2, s3, v17
	.loc	1 14 27                         ; layer_norm.py:14:27
	s_cmp_gt_i32 s15, 0
	.loc	1 15 34                         ; layer_norm.py:15:34
	v_or_b32_e32 v1, 0x600, v2
	v_or_b32_e32 v4, 0x400, v2
	v_mov_b32_e32 v3, 0
	s_mov_b32 s2, 0
	.loc	1 14 27                         ; layer_norm.py:14:27
	s_cselect_b64 s[18:19], -1, 0
	s_cmp_lt_i32 s15, 1
	v_mov_b32_e32 v5, 0
	v_add_u32_e32 v16, s3, v17
	s_cbranch_scc1 .LBB0_12
; %bb.1:                                ; %.lr.ph.preheader
	.loc	1 0 27 is_stmt 0                ; layer_norm.py:0:27
	v_mov_b32_e32 v6, v3
	v_mov_b32_e32 v7, v3
	;; [unrolled: 1-line block ×4, first 2 shown]
	s_branch .LBB0_3
.LBB0_2:                                ;   in Loop: Header=BB0_3 Depth=1
	s_or_b64 exec, exec, s[20:21]
	.loc	1 14 27 is_stmt 1               ; layer_norm.py:14:27
	s_addk_i32 s2, 0x800
	.loc	1 17 17                         ; layer_norm.py:17:17
	s_waitcnt vmcnt(0)
	v_pk_add_f32 v[8:9], v[8:9], v[10:11]
	.loc	1 14 27                         ; layer_norm.py:14:27
	s_cmp_lt_i32 s2, s15
	.loc	1 17 17                         ; layer_norm.py:17:17
	v_pk_add_f32 v[6:7], v[6:7], v[12:13]
	.loc	1 14 27                         ; layer_norm.py:14:27
	s_cbranch_scc0 .LBB0_11
.LBB0_3:                                ; %.lr.ph
                                        ; =>This Inner Loop Header: Depth=1
	.loc	1 15 21                         ; layer_norm.py:15:21
	v_add_u32_e32 v12, s2, v16
	.loc	1 16 42                         ; layer_norm.py:16:42
	v_cmp_gt_i32_e32 vcc, s15, v12
	v_mov_b32_e32 v11, 0
	v_mov_b32_e32 v10, 0
	.loc	1 16 20 is_stmt 0               ; layer_norm.py:16:20
	s_and_saveexec_b64 s[20:21], vcc
	s_cbranch_execz .LBB0_5
; %bb.4:                                ;   in Loop: Header=BB0_3 Depth=1
	.loc	1 0 20                          ; layer_norm.py:0:20
	v_ashrrev_i32_e32 v13, 31, v12
	v_lshl_add_u64 v[14:15], v[12:13], 2, s[26:27]
	.loc	1 16 20                         ; layer_norm.py:16:20
	global_load_dword v10, v[14:15], off
.LBB0_5:                                ;   in Loop: Header=BB0_3 Depth=1
	.loc	1 0 20                          ; layer_norm.py:0:20
	s_or_b64 exec, exec, s[20:21]
	.loc	1 15 21 is_stmt 1               ; layer_norm.py:15:21
	v_add_u32_e32 v5, 0x200, v12
	.loc	1 16 42                         ; layer_norm.py:16:42
	v_cmp_gt_i32_e32 vcc, s15, v5
	.loc	1 16 20 is_stmt 0               ; layer_norm.py:16:20
	s_and_saveexec_b64 s[20:21], vcc
	s_cbranch_execz .LBB0_7
; %bb.6:                                ;   in Loop: Header=BB0_3 Depth=1
	.loc	1 16 24                         ; layer_norm.py:16:24
	s_ashr_i32 s3, s2, 31
	v_lshl_add_u64 v[12:13], s[2:3], 0, v[2:3]
	v_lshl_add_u64 v[12:13], v[12:13], 2, s[26:27]
	.loc	1 16 20                         ; layer_norm.py:16:20
	global_load_dword v11, v[12:13], off offset:2048
.LBB0_7:                                ;   in Loop: Header=BB0_3 Depth=1
	.loc	1 0 20                          ; layer_norm.py:0:20
	s_or_b64 exec, exec, s[20:21]
	.loc	1 15 21 is_stmt 1               ; layer_norm.py:15:21
	v_add_u32_e32 v14, s2, v4
	.loc	1 16 42                         ; layer_norm.py:16:42
	v_cmp_gt_i32_e32 vcc, s15, v14
	v_mov_b32_e32 v13, 0
	v_mov_b32_e32 v12, 0
	.loc	1 16 20 is_stmt 0               ; layer_norm.py:16:20
	s_and_saveexec_b64 s[20:21], vcc
	s_cbranch_execz .LBB0_9
; %bb.8:                                ;   in Loop: Header=BB0_3 Depth=1
	.loc	1 16 24                         ; layer_norm.py:16:24
	v_ashrrev_i32_e32 v15, 31, v14
	v_lshl_add_u64 v[14:15], v[14:15], 2, s[26:27]
	.loc	1 16 20                         ; layer_norm.py:16:20
	global_load_dword v12, v[14:15], off
.LBB0_9:                                ;   in Loop: Header=BB0_3 Depth=1
	.loc	1 0 20                          ; layer_norm.py:0:20
	s_or_b64 exec, exec, s[20:21]
	.loc	1 16 42                         ; layer_norm.py:16:42
	v_add_u32_e32 v14, s2, v1
	v_cmp_gt_i32_e32 vcc, s15, v14
	.loc	1 16 20                         ; layer_norm.py:16:20
	s_and_saveexec_b64 s[20:21], vcc
	s_cbranch_execz .LBB0_2
; %bb.10:                               ;   in Loop: Header=BB0_3 Depth=1
	.loc	1 16 24                         ; layer_norm.py:16:24
	v_ashrrev_i32_e32 v15, 31, v14
	v_lshl_add_u64 v[14:15], v[14:15], 2, s[26:27]
	.loc	1 16 20                         ; layer_norm.py:16:20
	global_load_dword v13, v[14:15], off
	s_branch .LBB0_2
.LBB0_11:                               ; %._crit_edge.loopexit
.Ltmp2:
	.file	2 "/root/.local/lib/python3.13/site-packages/triton/language" "standard.py"
	.loc	2 263 15 is_stmt 1              ; standard.py:263:15 @[ standard.py:293:36 @[ layer_norm.py:18:18 ] ]
	v_add_f32_e32 v3, v8, v9
	v_add_f32_e32 v3, v6, v3
	;; [unrolled: 1-line block ×3, first 2 shown]
.LBB0_12:                               ; %Flow22
	.loc	2 263 15                        ; standard.py:263:15 @[ standard.py:293:36 @[ layer_norm.py:18:18 ] ]
	s_nop 1
	v_add_f32_dpp v3, v5, v5 row_shr:8 row_mask:0xf bank_mask:0xf bound_ctrl:1
	s_load_dword s14, s[0:1], 0x38
.Ltmp3:
	.loc	2 293 36                        ; standard.py:293:36 @[ layer_norm.py:18:18 ]
	s_lshr_b32 s0, s17, 4
.Ltmp4:
	.loc	2 263 15                        ; standard.py:263:15 @[ standard.py:293:36 @[ layer_norm.py:18:18 ] ]
	v_add_f32_dpp v3, v3, v3 row_shr:4 row_mask:0xf bank_mask:0xf bound_ctrl:1
.Ltmp5:
	.loc	2 293 36                        ; standard.py:293:36 @[ layer_norm.py:18:18 ]
	s_and_b32 s0, s0, 28
	v_cmp_eq_u32_e64 s[2:3], 0, v17
.Ltmp6:
	.loc	2 263 15                        ; standard.py:263:15 @[ standard.py:293:36 @[ layer_norm.py:18:18 ] ]
	v_add_f32_dpp v3, v3, v3 row_shr:2 row_mask:0xf bank_mask:0xf bound_ctrl:1
.Ltmp7:
	.loc	2 293 36                        ; standard.py:293:36 @[ layer_norm.py:18:18 ]
	s_add_i32 s33, s0, 0
.Ltmp8:
	.loc	2 263 15                        ; standard.py:263:15 @[ standard.py:293:36 @[ layer_norm.py:18:18 ] ]
	s_nop 0
	v_add_f32_dpp v3, v3, v3 row_shr:1 row_mask:0xf bank_mask:0xf bound_ctrl:1
.Ltmp9:
	.loc	2 293 36                        ; standard.py:293:36 @[ layer_norm.py:18:18 ]
	v_mov_b32_e32 v5, v3
	s_nop 1
	v_mov_b32_dpp v5, v5 row_bcast:15 row_mask:0xa bank_mask:0xf bound_ctrl:1
.Ltmp10:
	.loc	2 263 15                        ; standard.py:263:15 @[ standard.py:293:36 @[ layer_norm.py:18:18 ] ]
	v_add_f32_e32 v3, v3, v5
	s_nop 1
	v_add_f32_dpp v3, v3, v3 row_bcast:31 row_mask:0xf bank_mask:0xf bound_ctrl:1
.Ltmp11:
	.loc	2 293 36                        ; standard.py:293:36 @[ layer_norm.py:18:18 ]
	s_nop 0
	v_readlane_b32 s20, v3, 63
	s_and_saveexec_b64 s[0:1], s[2:3]
; %bb.13:
	v_mov_b32_e32 v3, s33
	v_mov_b32_e32 v5, s20
	ds_write_b32 v3, v5
; %bb.14:
	.loc	2 0 36 is_stmt 0                ; standard.py:0:36
	s_or_b64 exec, exec, s[0:1]
	.loc	2 293 36                        ; standard.py:293:36 @[ layer_norm.py:18:18 ]
	v_cmp_gt_u32_e64 s[24:25], 8, v0
	v_lshl_add_u32 v18, v0, 2, 0
.Ltmp12:
	.loc	1 18 18 is_stmt 1               ; layer_norm.py:18:18
	v_mov_b32_e32 v3, 0
.Ltmp13:
	.loc	2 293 36                        ; standard.py:293:36 @[ layer_norm.py:18:18 ]
	s_waitcnt lgkmcnt(0)
	s_barrier
	s_and_saveexec_b64 s[0:1], s[24:25]
; %bb.15:
	ds_read_b32 v3, v18
; %bb.16:
	.loc	2 0 36 is_stmt 0                ; standard.py:0:36
	s_or_b64 exec, exec, s[0:1]
	.loc	2 293 36                        ; standard.py:293:36 @[ layer_norm.py:18:18 ]
	s_waitcnt lgkmcnt(0)
	v_mov_b32_e32 v5, v3
	v_and_b32_e32 v0, 7, v0
	v_cmp_eq_u32_e32 vcc, 0, v0
	v_mov_b32_dpp v5, v5 row_shr:4 row_mask:0xf bank_mask:0xa
	s_and_b64 s[30:31], s[24:25], vcc
	s_nop 0
	v_mov_b32_dpp v5, v3 row_shl:4 row_mask:0xf bank_mask:0x5
.Ltmp14:
	.loc	2 263 15 is_stmt 1              ; standard.py:263:15 @[ standard.py:293:36 @[ layer_norm.py:18:18 ] ]
	v_add_f32_e32 v3, v3, v5
.Ltmp15:
	.loc	2 293 36                        ; standard.py:293:36 @[ layer_norm.py:18:18 ]
	v_mov_b32_e32 v5, v3
	s_nop 1
	v_mov_b32_dpp v5, v5 quad_perm:[2,3,0,1] row_mask:0xf bank_mask:0xf
.Ltmp16:
	.loc	2 263 15                        ; standard.py:263:15 @[ standard.py:293:36 @[ layer_norm.py:18:18 ] ]
	v_add_f32_e32 v3, v3, v5
.Ltmp17:
	.loc	2 293 36                        ; standard.py:293:36 @[ layer_norm.py:18:18 ]
	v_mov_b32_e32 v5, v3
	s_nop 1
	v_mov_b32_dpp v5, v5 quad_perm:[1,0,3,2] row_mask:0xf bank_mask:0xf
	s_and_saveexec_b64 s[0:1], s[30:31]
; %bb.17:
	.loc	2 0 36 is_stmt 0                ; standard.py:0:36
	v_add_f32_e32 v0, v3, v5
	.loc	2 293 36                        ; standard.py:293:36 @[ layer_norm.py:18:18 ]
	ds_write_b32 v18, v0
; %bb.18:
	.loc	2 0 36                          ; standard.py:0:36
	s_or_b64 exec, exec, s[0:1]
	.loc	2 293 36                        ; standard.py:293:36 @[ layer_norm.py:18:18 ]
	v_mov_b32_e32 v8, 0
	s_waitcnt lgkmcnt(0)
	s_barrier
	ds_read_b32 v0, v8
.Ltmp18:
	.loc	1 18 35 is_stmt 1               ; layer_norm.py:18:35
	v_cvt_f32_i32_e32 v19, s15
.Ltmp19:
	.loc	2 293 36                        ; standard.py:293:36 @[ layer_norm.py:18:18 ]
	s_mov_b32 s36, 0
.Ltmp20:
	.loc	1 18 35                         ; layer_norm.py:18:35
	s_waitcnt lgkmcnt(0)
	v_div_scale_f32 v3, s[0:1], v19, v19, v0
	v_rcp_f32_e32 v5, v3
	v_div_scale_f32 v6, vcc, v0, v19, v0
	v_fma_f32 v7, -v3, v5, 1.0
	v_fmac_f32_e32 v5, v7, v5
	v_mul_f32_e32 v7, v6, v5
	v_fma_f32 v9, -v3, v7, v6
	v_fmac_f32_e32 v7, v9, v5
	v_fma_f32 v3, -v3, v7, v6
	v_div_fmas_f32 v3, v3, v5, v7
	v_div_fixup_f32 v6, v3, v19, v0
	.loc	1 20 27                         ; layer_norm.py:20:27
	v_cndmask_b32_e64 v0, 0, 1, s[18:19]
	v_cmp_ne_u32_e64 s[0:1], 1, v0
	s_andn2_b64 vcc, exec, s[18:19]
	v_mov_b32_e32 v0, 0
	s_cbranch_vccnz .LBB0_30
; %bb.19:                               ; %.lr.ph6.preheader
	.loc	1 15 34                         ; layer_norm.py:15:34
	v_or_b32_e32 v3, 0x200, v2
	s_mov_b32 s37, s15
	v_mov_b32_e32 v7, v6
	v_mov_b32_e32 v9, v8
	;; [unrolled: 1-line block ×4, first 2 shown]
	s_branch .LBB0_21
.LBB0_20:                               ;   in Loop: Header=BB0_21 Depth=1
	.loc	1 0 34 is_stmt 0                ; layer_norm.py:0:34
	s_or_b64 exec, exec, s[34:35]
	.loc	1 23 35 is_stmt 1               ; layer_norm.py:23:35
	s_waitcnt vmcnt(0)
	v_pk_add_f32 v[12:13], v[12:13], v[6:7] neg_lo:[0,1] neg_hi:[0,1]
	v_pk_add_f32 v[14:15], v[14:15], v[6:7] neg_lo:[0,1] neg_hi:[0,1]
	.loc	1 23 41 is_stmt 0               ; layer_norm.py:23:41
	v_cndmask_b32_e32 v13, 0, v13, vcc
	v_cndmask_b32_e64 v12, 0, v12, s[18:19]
	v_cndmask_b32_e64 v15, 0, v15, s[20:21]
	;; [unrolled: 1-line block ×3, first 2 shown]
	.loc	1 20 27 is_stmt 1               ; layer_norm.py:20:27
	s_addk_i32 s36, 0x800
	.loc	1 24 16                         ; layer_norm.py:24:16
	v_pk_fma_f32 v[10:11], v[12:13], v[12:13], v[10:11]
	.loc	1 20 27                         ; layer_norm.py:20:27
	s_cmp_lt_i32 s36, s15
	.loc	1 24 16                         ; layer_norm.py:24:16
	v_pk_fma_f32 v[8:9], v[14:15], v[14:15], v[8:9]
	.loc	1 20 27                         ; layer_norm.py:20:27
	s_cbranch_scc0 .LBB0_29
.LBB0_21:                               ; %.lr.ph6
                                        ; =>This Inner Loop Header: Depth=1
	.loc	1 21 21                         ; layer_norm.py:21:21
	v_or_b32_e32 v5, s36, v3
	v_or_b32_e32 v0, s36, v2
	s_mov_b32 s22, s36
	.loc	1 22 42                         ; layer_norm.py:22:42
	v_cmp_gt_i32_e32 vcc, s37, v5
	v_cmp_gt_i32_e64 s[18:19], s15, v0
	v_mov_b32_e32 v13, 0
	v_mov_b32_e32 v12, 0
	.loc	1 22 20 is_stmt 0               ; layer_norm.py:22:20
	s_and_saveexec_b64 s[20:21], s[18:19]
	s_cbranch_execz .LBB0_23
; %bb.22:                               ;   in Loop: Header=BB0_21 Depth=1
	.loc	1 0 20                          ; layer_norm.py:0:20
	v_ashrrev_i32_e32 v15, 31, v0
	v_mov_b32_e32 v14, v0
	v_lshl_add_u64 v[14:15], v[14:15], 2, s[26:27]
	.loc	1 22 20                         ; layer_norm.py:22:20
	global_load_dword v12, v[14:15], off
.LBB0_23:                               ;   in Loop: Header=BB0_21 Depth=1
	.loc	1 0 20                          ; layer_norm.py:0:20
	s_or_b64 exec, exec, s[20:21]
	.loc	1 22 20                         ; layer_norm.py:22:20
	s_and_saveexec_b64 s[20:21], vcc
	s_cbranch_execz .LBB0_25
; %bb.24:                               ;   in Loop: Header=BB0_21 Depth=1
	.loc	1 22 24                         ; layer_norm.py:22:24
	v_ashrrev_i32_e32 v15, 31, v5
	v_mov_b32_e32 v14, v5
	v_lshl_add_u64 v[14:15], v[14:15], 2, s[26:27]
	.loc	1 22 20                         ; layer_norm.py:22:20
	global_load_dword v13, v[14:15], off
.LBB0_25:                               ;   in Loop: Header=BB0_21 Depth=1
	.loc	1 0 20                          ; layer_norm.py:0:20
	s_or_b64 exec, exec, s[20:21]
	.loc	1 21 21 is_stmt 1               ; layer_norm.py:21:21
	v_or_b32_e32 v5, s22, v1
	v_or_b32_e32 v0, s36, v4
	.loc	1 22 42                         ; layer_norm.py:22:42
	v_cmp_gt_i32_e64 s[20:21], s37, v5
	v_cmp_gt_i32_e64 s[22:23], s15, v0
	v_mov_b32_e32 v15, 0
	v_mov_b32_e32 v14, 0
	.loc	1 22 20 is_stmt 0               ; layer_norm.py:22:20
	s_and_saveexec_b64 s[34:35], s[22:23]
	s_cbranch_execz .LBB0_27
; %bb.26:                               ;   in Loop: Header=BB0_21 Depth=1
	.loc	1 22 24                         ; layer_norm.py:22:24
	v_ashrrev_i32_e32 v21, 31, v0
	v_mov_b32_e32 v20, v0
	v_lshl_add_u64 v[20:21], v[20:21], 2, s[26:27]
	.loc	1 22 20                         ; layer_norm.py:22:20
	global_load_dword v14, v[20:21], off
.LBB0_27:                               ;   in Loop: Header=BB0_21 Depth=1
	.loc	1 0 20                          ; layer_norm.py:0:20
	s_or_b64 exec, exec, s[34:35]
	.loc	1 22 20                         ; layer_norm.py:22:20
	s_and_saveexec_b64 s[34:35], s[20:21]
	s_cbranch_execz .LBB0_20
; %bb.28:                               ;   in Loop: Header=BB0_21 Depth=1
	.loc	1 22 24                         ; layer_norm.py:22:24
	v_ashrrev_i32_e32 v21, 31, v5
	v_mov_b32_e32 v20, v5
	v_lshl_add_u64 v[20:21], v[20:21], 2, s[26:27]
	.loc	1 22 20                         ; layer_norm.py:22:20
	global_load_dword v15, v[20:21], off
	s_branch .LBB0_20
.LBB0_29:                               ; %._crit_edge7.loopexit
.Ltmp21:
	.loc	2 293 36 is_stmt 1              ; standard.py:293:36 @[ layer_norm.py:25:17 ]
	v_add_f32_e32 v0, v10, v11
	v_add_f32_e32 v0, v8, v0
	;; [unrolled: 1-line block ×3, first 2 shown]
.LBB0_30:                               ; %._crit_edge7
.Ltmp22:
	.loc	2 263 15                        ; standard.py:263:15 @[ standard.py:293:36 @[ layer_norm.py:25:17 ] ]
	s_nop 1
	v_add_f32_dpp v0, v0, v0 row_shr:8 row_mask:0xf bank_mask:0xf bound_ctrl:1
.Ltmp23:
	.loc	2 293 36                        ; standard.py:293:36 @[ layer_norm.py:25:17 ]
	s_waitcnt lgkmcnt(0)
	s_barrier
.Ltmp24:
	.loc	2 263 15                        ; standard.py:263:15 @[ standard.py:293:36 @[ layer_norm.py:25:17 ] ]
	v_add_f32_dpp v0, v0, v0 row_shr:4 row_mask:0xf bank_mask:0xf bound_ctrl:1
	s_nop 1
	v_add_f32_dpp v0, v0, v0 row_shr:2 row_mask:0xf bank_mask:0xf bound_ctrl:1
	s_nop 1
	v_add_f32_dpp v0, v0, v0 row_shr:1 row_mask:0xf bank_mask:0xf bound_ctrl:1
.Ltmp25:
	.loc	2 293 36                        ; standard.py:293:36 @[ layer_norm.py:25:17 ]
	v_mov_b32_e32 v3, v0
	s_nop 1
	v_mov_b32_dpp v3, v3 row_bcast:15 row_mask:0xa bank_mask:0xf bound_ctrl:1
.Ltmp26:
	.loc	2 263 15                        ; standard.py:263:15 @[ standard.py:293:36 @[ layer_norm.py:25:17 ] ]
	v_add_f32_e32 v0, v0, v3
	s_nop 1
	v_add_f32_dpp v0, v0, v0 row_bcast:31 row_mask:0xf bank_mask:0xf bound_ctrl:1
.Ltmp27:
	.loc	2 293 36                        ; standard.py:293:36 @[ layer_norm.py:25:17 ]
	s_nop 0
	v_readlane_b32 s20, v0, 63
	s_and_saveexec_b64 s[18:19], s[2:3]
; %bb.31:
	v_mov_b32_e32 v0, s33
	v_mov_b32_e32 v3, s20
	ds_write_b32 v0, v3
.Ltmp28:
; %bb.32:
	.loc	2 0 36 is_stmt 0                ; standard.py:0:36
	s_or_b64 exec, exec, s[18:19]
	.loc	1 25 17 is_stmt 1               ; layer_norm.py:25:17
	v_mov_b32_e32 v0, 0
.Ltmp29:
	.loc	2 293 36                        ; standard.py:293:36 @[ layer_norm.py:25:17 ]
	s_waitcnt lgkmcnt(0)
	s_barrier
	s_and_saveexec_b64 s[2:3], s[24:25]
; %bb.33:
	ds_read_b32 v0, v18
; %bb.34:
	.loc	2 0 36 is_stmt 0                ; standard.py:0:36
	s_or_b64 exec, exec, s[2:3]
	.loc	2 293 36                        ; standard.py:293:36 @[ layer_norm.py:25:17 ]
	s_waitcnt lgkmcnt(0)
	v_mov_b32_e32 v3, v0
	s_nop 1
	v_mov_b32_dpp v3, v3 row_shr:4 row_mask:0xf bank_mask:0xa
	s_nop 1
	v_mov_b32_dpp v3, v0 row_shl:4 row_mask:0xf bank_mask:0x5
.Ltmp30:
	.loc	2 263 15 is_stmt 1              ; standard.py:263:15 @[ standard.py:293:36 @[ layer_norm.py:25:17 ] ]
	v_add_f32_e32 v0, v0, v3
.Ltmp31:
	.loc	2 293 36                        ; standard.py:293:36 @[ layer_norm.py:25:17 ]
	v_mov_b32_e32 v3, v0
	s_nop 1
	v_mov_b32_dpp v3, v3 quad_perm:[2,3,0,1] row_mask:0xf bank_mask:0xf
.Ltmp32:
	.loc	2 263 15                        ; standard.py:263:15 @[ standard.py:293:36 @[ layer_norm.py:25:17 ] ]
	v_add_f32_e32 v0, v0, v3
.Ltmp33:
	.loc	2 293 36                        ; standard.py:293:36 @[ layer_norm.py:25:17 ]
	v_mov_b32_e32 v3, v0
	s_nop 1
	v_mov_b32_dpp v3, v3 quad_perm:[1,0,3,2] row_mask:0xf bank_mask:0xf
	s_and_saveexec_b64 s[2:3], s[30:31]
; %bb.35:
	.loc	2 0 36 is_stmt 0                ; standard.py:0:36
	v_add_f32_e32 v0, v0, v3
	.loc	2 293 36                        ; standard.py:293:36 @[ layer_norm.py:25:17 ]
	ds_write_b32 v18, v0
; %bb.36:
	.loc	2 0 36                          ; standard.py:0:36
	s_or_b64 exec, exec, s[2:3]
	.loc	2 293 36                        ; standard.py:293:36 @[ layer_norm.py:25:17 ]
	v_mov_b32_e32 v3, 0
	s_waitcnt lgkmcnt(0)
	s_barrier
	ds_read_b32 v0, v3
.Ltmp34:
	.loc	1 25 33 is_stmt 1               ; layer_norm.py:25:33
	s_waitcnt lgkmcnt(0)
	v_div_scale_f32 v5, s[2:3], v19, v19, v0
	v_rcp_f32_e32 v7, v5
	v_div_scale_f32 v8, vcc, v0, v19, v0
	v_fma_f32 v9, -v5, v7, 1.0
	v_fmac_f32_e32 v7, v9, v7
	v_mul_f32_e32 v9, v8, v7
	v_fma_f32 v10, -v5, v9, v8
	v_fmac_f32_e32 v9, v10, v7
	v_fma_f32 v5, -v5, v9, v8
	v_div_fmas_f32 v5, v5, v7, v9
	v_div_fixup_f32 v0, v5, v19, v0
	.loc	1 26 29                         ; layer_norm.py:26:29
	v_add_f32_e32 v0, s14, v0
	.loc	1 26 23 is_stmt 0               ; layer_norm.py:26:23
	v_sqrt_f32_e32 v0, v0
	.loc	1 37 27 is_stmt 1               ; layer_norm.py:37:27
	s_lshr_b32 s14, s17, 6
	.loc	1 27 25                         ; layer_norm.py:27:25
	v_or_b32_e32 v8, s14, v17
	.loc	1 26 15                         ; layer_norm.py:26:15
	v_div_scale_f32 v5, s[2:3], v0, v0, 1.0
	v_rcp_f32_e32 v7, v5
	v_div_scale_f32 v9, vcc, 1.0, v0, 1.0
	v_fma_f32 v10, -v5, v7, 1.0
	v_fmac_f32_e32 v7, v10, v7
	v_mul_f32_e32 v10, v9, v7
	v_fma_f32 v11, -v5, v10, v9
	v_fmac_f32_e32 v10, v11, v7
	v_fma_f32 v5, -v5, v10, v9
	v_div_fmas_f32 v5, v5, v7, v10
	v_div_fixup_f32 v0, v5, v0, 1.0
	.loc	1 27 25                         ; layer_norm.py:27:25
	v_cmp_eq_u32_e32 vcc, 0, v8
	s_and_saveexec_b64 s[2:3], vcc
	s_cbranch_execz .LBB0_38
; %bb.37:
	.loc	1 0 25 is_stmt 0                ; layer_norm.py:0:25
	s_ashr_i32 s17, s16, 31
	s_lshl_b64 s[16:17], s[16:17], 2
	s_add_u32 s12, s12, s16
	s_addc_u32 s13, s13, s17
	s_add_u32 s10, s10, s16
	s_addc_u32 s11, s11, s17
	.loc	1 27 25                         ; layer_norm.py:27:25
	global_store_dword v3, v6, s[10:11]
	.loc	1 28 25 is_stmt 1               ; layer_norm.py:28:25
	global_store_dword v3, v0, s[12:13]
.LBB0_38:                               ; %.critedge
	.loc	1 0 25 is_stmt 0                ; layer_norm.py:0:25
	s_or_b64 exec, exec, s[2:3]
	.loc	1 29 27 is_stmt 1               ; layer_norm.py:29:27
	s_and_b64 vcc, exec, s[0:1]
	s_cbranch_vccnz .LBB0_73
; %bb.39:                               ; %.lr.ph9.preheader
	.loc	1 10 9                          ; layer_norm.py:10:9
	s_add_u32 s10, s4, s28
	s_addc_u32 s11, s5, s29
	v_mov_b32_e32 v3, 0
	s_mov_b32 s12, 0
	s_branch .LBB0_41
.LBB0_40:                               ;   in Loop: Header=BB0_41 Depth=1
	.loc	1 0 9 is_stmt 0                 ; layer_norm.py:0:9
	s_or_b64 exec, exec, s[0:1]
	.loc	1 29 27 is_stmt 1               ; layer_norm.py:29:27
	s_addk_i32 s12, 0x800
	s_cmp_lt_i32 s12, s15
	s_cbranch_scc0 .LBB0_73
.LBB0_41:                               ; %.lr.ph9
                                        ; =>This Inner Loop Header: Depth=1
	.loc	1 30 21                         ; layer_norm.py:30:21
	v_add_u32_e32 v8, s12, v16
	.loc	1 32 20                         ; layer_norm.py:32:20
	s_waitcnt vmcnt(0)
	v_mov_b32_e32 v5, 0
	.loc	1 31 22                         ; layer_norm.py:31:22
	v_cmp_gt_i32_e32 vcc, s15, v8
	v_mov_b32_e32 v17, v5
	.loc	1 32 20                         ; layer_norm.py:32:20
	s_and_saveexec_b64 s[0:1], vcc
	s_cbranch_execz .LBB0_43
; %bb.42:                               ;   in Loop: Header=BB0_41 Depth=1
	.loc	1 0 20 is_stmt 0                ; layer_norm.py:0:20
	v_ashrrev_i32_e32 v9, 31, v8
	v_lshl_add_u64 v[10:11], v[8:9], 2, s[6:7]
	.loc	1 32 20                         ; layer_norm.py:32:20
	global_load_dword v17, v[10:11], off
.LBB0_43:                               ;   in Loop: Header=BB0_41 Depth=1
	.loc	1 0 20                          ; layer_norm.py:0:20
	s_or_b64 exec, exec, s[0:1]
	.loc	1 30 21 is_stmt 1               ; layer_norm.py:30:21
	v_add_u32_e32 v7, 0x200, v8
	.loc	1 32 24                         ; layer_norm.py:32:24
	s_ashr_i32 s13, s12, 31
	.loc	1 31 22                         ; layer_norm.py:31:22
	v_cmp_gt_i32_e64 s[0:1], s15, v7
	v_lshl_add_u64 v[10:11], s[12:13], 0, v[2:3]
	.loc	1 32 20                         ; layer_norm.py:32:20
	s_and_saveexec_b64 s[2:3], s[0:1]
	s_cbranch_execz .LBB0_45
; %bb.44:                               ;   in Loop: Header=BB0_41 Depth=1
	.loc	1 32 24 is_stmt 0               ; layer_norm.py:32:24
	v_lshl_add_u64 v[12:13], v[10:11], 2, s[6:7]
	.loc	1 32 20                         ; layer_norm.py:32:20
	global_load_dword v5, v[12:13], off offset:2048
.LBB0_45:                               ;   in Loop: Header=BB0_41 Depth=1
	.loc	1 0 20                          ; layer_norm.py:0:20
	s_or_b64 exec, exec, s[2:3]
	.loc	1 30 21 is_stmt 1               ; layer_norm.py:30:21
	v_add_u32_e32 v12, s12, v4
	.loc	1 32 20                         ; layer_norm.py:32:20
	v_mov_b32_e32 v7, 0
	.loc	1 31 22                         ; layer_norm.py:31:22
	v_cmp_gt_i32_e64 s[2:3], s15, v12
	.loc	1 32 24                         ; layer_norm.py:32:24
	v_ashrrev_i32_e32 v13, 31, v12
	v_mov_b32_e32 v18, v7
	.loc	1 32 20 is_stmt 0               ; layer_norm.py:32:20
	s_and_saveexec_b64 s[4:5], s[2:3]
	s_cbranch_execz .LBB0_47
; %bb.46:                               ;   in Loop: Header=BB0_41 Depth=1
	.loc	1 32 24                         ; layer_norm.py:32:24
	v_lshl_add_u64 v[14:15], v[12:13], 2, s[6:7]
	.loc	1 32 20                         ; layer_norm.py:32:20
	global_load_dword v18, v[14:15], off
.LBB0_47:                               ;   in Loop: Header=BB0_41 Depth=1
	.loc	1 0 20                          ; layer_norm.py:0:20
	s_or_b64 exec, exec, s[4:5]
	.loc	1 31 22 is_stmt 1               ; layer_norm.py:31:22
	v_add_u32_e32 v14, s12, v1
	v_cmp_gt_i32_e64 s[4:5], s15, v14
	.loc	1 32 24                         ; layer_norm.py:32:24
	v_ashrrev_i32_e32 v15, 31, v14
	.loc	1 32 20 is_stmt 0               ; layer_norm.py:32:20
	s_and_saveexec_b64 s[16:17], s[4:5]
	s_cbranch_execz .LBB0_49
; %bb.48:                               ;   in Loop: Header=BB0_41 Depth=1
	.loc	1 32 24                         ; layer_norm.py:32:24
	v_lshl_add_u64 v[20:21], v[14:15], 2, s[6:7]
	.loc	1 32 20                         ; layer_norm.py:32:20
	global_load_dword v7, v[20:21], off
.LBB0_49:                               ;   in Loop: Header=BB0_41 Depth=1
	.loc	1 0 20                          ; layer_norm.py:0:20
	s_or_b64 exec, exec, s[16:17]
	.loc	1 33 20 is_stmt 1               ; layer_norm.py:33:20
	v_mov_b32_e32 v19, 0
	v_mov_b32_e32 v21, v19
	s_and_saveexec_b64 s[16:17], vcc
	s_cbranch_execz .LBB0_51
; %bb.50:                               ;   in Loop: Header=BB0_41 Depth=1
	.loc	1 0 20 is_stmt 0                ; layer_norm.py:0:20
	v_ashrrev_i32_e32 v9, 31, v8
	v_lshl_add_u64 v[20:21], v[8:9], 2, s[8:9]
	.loc	1 33 20                         ; layer_norm.py:33:20
	global_load_dword v21, v[20:21], off
.LBB0_51:                               ;   in Loop: Header=BB0_41 Depth=1
	.loc	1 0 20                          ; layer_norm.py:0:20
	s_or_b64 exec, exec, s[16:17]
	.loc	1 33 20                         ; layer_norm.py:33:20
	s_and_saveexec_b64 s[16:17], s[0:1]
	s_cbranch_execz .LBB0_53
; %bb.52:                               ;   in Loop: Header=BB0_41 Depth=1
	.loc	1 33 24                         ; layer_norm.py:33:24
	v_lshl_add_u64 v[22:23], v[10:11], 2, s[8:9]
	.loc	1 33 20                         ; layer_norm.py:33:20
	global_load_dword v19, v[22:23], off offset:2048
.LBB0_53:                               ;   in Loop: Header=BB0_41 Depth=1
	.loc	1 0 20                          ; layer_norm.py:0:20
	s_or_b64 exec, exec, s[16:17]
	.loc	1 33 20                         ; layer_norm.py:33:20
	v_mov_b32_e32 v20, 0
	v_mov_b32_e32 v22, v20
	s_and_saveexec_b64 s[16:17], s[2:3]
	s_cbranch_execz .LBB0_55
; %bb.54:                               ;   in Loop: Header=BB0_41 Depth=1
	.loc	1 33 24                         ; layer_norm.py:33:24
	v_lshl_add_u64 v[22:23], v[12:13], 2, s[8:9]
	.loc	1 33 20                         ; layer_norm.py:33:20
	global_load_dword v22, v[22:23], off
.LBB0_55:                               ;   in Loop: Header=BB0_41 Depth=1
	.loc	1 0 20                          ; layer_norm.py:0:20
	s_or_b64 exec, exec, s[16:17]
	.loc	1 33 20                         ; layer_norm.py:33:20
	s_and_saveexec_b64 s[16:17], s[4:5]
	s_cbranch_execz .LBB0_57
; %bb.56:                               ;   in Loop: Header=BB0_41 Depth=1
	.loc	1 33 24                         ; layer_norm.py:33:24
	v_lshl_add_u64 v[24:25], v[14:15], 2, s[8:9]
	.loc	1 33 20                         ; layer_norm.py:33:20
	global_load_dword v20, v[24:25], off
.LBB0_57:                               ;   in Loop: Header=BB0_41 Depth=1
	.loc	1 0 20                          ; layer_norm.py:0:20
	s_or_b64 exec, exec, s[16:17]
	.loc	1 34 20 is_stmt 1               ; layer_norm.py:34:20
	v_mov_b32_e32 v23, 0
	v_mov_b32_e32 v25, v23
	s_and_saveexec_b64 s[16:17], vcc
	s_cbranch_execz .LBB0_59
; %bb.58:                               ;   in Loop: Header=BB0_41 Depth=1
	.loc	1 0 20 is_stmt 0                ; layer_norm.py:0:20
	v_ashrrev_i32_e32 v9, 31, v8
	v_lshl_add_u64 v[24:25], v[8:9], 2, s[26:27]
	.loc	1 34 20                         ; layer_norm.py:34:20
	global_load_dword v25, v[24:25], off
.LBB0_59:                               ;   in Loop: Header=BB0_41 Depth=1
	.loc	1 0 20                          ; layer_norm.py:0:20
	s_or_b64 exec, exec, s[16:17]
	.loc	1 34 20                         ; layer_norm.py:34:20
	s_and_saveexec_b64 s[16:17], s[0:1]
	s_cbranch_execz .LBB0_61
; %bb.60:                               ;   in Loop: Header=BB0_41 Depth=1
	.loc	1 34 24                         ; layer_norm.py:34:24
	v_lshl_add_u64 v[26:27], v[10:11], 2, s[26:27]
	.loc	1 34 20                         ; layer_norm.py:34:20
	global_load_dword v23, v[26:27], off offset:2048
.LBB0_61:                               ;   in Loop: Header=BB0_41 Depth=1
	.loc	1 0 20                          ; layer_norm.py:0:20
	s_or_b64 exec, exec, s[16:17]
	.loc	1 34 20                         ; layer_norm.py:34:20
	v_mov_b32_e32 v24, 0
	v_mov_b32_e32 v26, v24
	s_and_saveexec_b64 s[16:17], s[2:3]
	s_cbranch_execnz .LBB0_67
; %bb.62:                               ;   in Loop: Header=BB0_41 Depth=1
	.loc	1 0 20                          ; layer_norm.py:0:20
	s_or_b64 exec, exec, s[16:17]
	.loc	1 34 20                         ; layer_norm.py:34:20
	s_and_saveexec_b64 s[16:17], s[4:5]
	s_cbranch_execnz .LBB0_68
.LBB0_63:                               ;   in Loop: Header=BB0_41 Depth=1
	.loc	1 0 20                          ; layer_norm.py:0:20
	s_or_b64 exec, exec, s[16:17]
	.loc	1 37 27 is_stmt 1               ; layer_norm.py:37:27
	s_and_saveexec_b64 s[16:17], vcc
	s_cbranch_execnz .LBB0_69
.LBB0_64:                               ;   in Loop: Header=BB0_41 Depth=1
	.loc	1 0 27 is_stmt 0                ; layer_norm.py:0:27
	s_or_b64 exec, exec, s[16:17]
	.loc	1 37 27                         ; layer_norm.py:37:27
	s_and_saveexec_b64 s[16:17], s[0:1]
	s_cbranch_execnz .LBB0_70
.LBB0_65:                               ;   in Loop: Header=BB0_41 Depth=1
	.loc	1 0 27                          ; layer_norm.py:0:27
	s_or_b64 exec, exec, s[16:17]
	.loc	1 37 27                         ; layer_norm.py:37:27
	s_and_saveexec_b64 s[0:1], s[2:3]
	s_cbranch_execnz .LBB0_71
.LBB0_66:                               ;   in Loop: Header=BB0_41 Depth=1
	.loc	1 0 27                          ; layer_norm.py:0:27
	s_or_b64 exec, exec, s[0:1]
	.loc	1 37 27                         ; layer_norm.py:37:27
	s_and_saveexec_b64 s[0:1], s[4:5]
	s_cbranch_execz .LBB0_40
	s_branch .LBB0_72
.LBB0_67:                               ;   in Loop: Header=BB0_41 Depth=1
	.loc	1 34 24 is_stmt 1               ; layer_norm.py:34:24
	v_lshl_add_u64 v[26:27], v[12:13], 2, s[26:27]
	.loc	1 34 20 is_stmt 0               ; layer_norm.py:34:20
	global_load_dword v26, v[26:27], off
	s_or_b64 exec, exec, s[16:17]
	s_and_saveexec_b64 s[16:17], s[4:5]
	s_cbranch_execz .LBB0_63
.LBB0_68:                               ;   in Loop: Header=BB0_41 Depth=1
	.loc	1 34 24                         ; layer_norm.py:34:24
	v_lshl_add_u64 v[28:29], v[14:15], 2, s[26:27]
	.loc	1 34 20                         ; layer_norm.py:34:20
	global_load_dword v24, v[28:29], off
	s_or_b64 exec, exec, s[16:17]
	.loc	1 37 27 is_stmt 1               ; layer_norm.py:37:27
	s_and_saveexec_b64 s[16:17], vcc
	s_cbranch_execz .LBB0_64
.LBB0_69:                               ;   in Loop: Header=BB0_41 Depth=1
	.loc	1 0 27 is_stmt 0                ; layer_norm.py:0:27
	s_waitcnt vmcnt(0)
	v_sub_f32_e32 v25, v25, v6
	v_ashrrev_i32_e32 v9, 31, v8
	v_mul_f32_e32 v25, v0, v25
	v_lshl_add_u64 v[8:9], v[8:9], 2, s[10:11]
	v_fmac_f32_e32 v21, v17, v25
	.loc	1 37 27                         ; layer_norm.py:37:27
	global_store_dword v[8:9], v21, off
	s_or_b64 exec, exec, s[16:17]
	s_and_saveexec_b64 s[16:17], s[0:1]
	s_cbranch_execz .LBB0_65
.LBB0_70:                               ;   in Loop: Header=BB0_41 Depth=1
	.loc	1 35 21 is_stmt 1               ; layer_norm.py:35:21
	s_waitcnt vmcnt(0)
	v_sub_f32_e32 v8, v23, v6
	.loc	1 35 29 is_stmt 0               ; layer_norm.py:35:29
	v_mul_f32_e32 v8, v0, v8
	.loc	1 36 24 is_stmt 1               ; layer_norm.py:36:24
	v_fmac_f32_e32 v19, v5, v8
	.loc	1 37 21                         ; layer_norm.py:37:21
	v_lshl_add_u64 v[8:9], v[10:11], 2, s[10:11]
	.loc	1 37 27 is_stmt 0               ; layer_norm.py:37:27
	global_store_dword v[8:9], v19, off offset:2048
	s_or_b64 exec, exec, s[16:17]
	s_and_saveexec_b64 s[0:1], s[2:3]
	s_cbranch_execz .LBB0_66
.LBB0_71:                               ;   in Loop: Header=BB0_41 Depth=1
	.loc	1 35 21 is_stmt 1               ; layer_norm.py:35:21
	s_waitcnt vmcnt(0)
	v_sub_f32_e32 v5, v26, v6
	.loc	1 35 29 is_stmt 0               ; layer_norm.py:35:29
	v_mul_f32_e32 v5, v0, v5
	.loc	1 36 24 is_stmt 1               ; layer_norm.py:36:24
	v_fmac_f32_e32 v22, v18, v5
	.loc	1 37 21                         ; layer_norm.py:37:21
	v_lshl_add_u64 v[8:9], v[12:13], 2, s[10:11]
	.loc	1 37 27 is_stmt 0               ; layer_norm.py:37:27
	global_store_dword v[8:9], v22, off
	s_or_b64 exec, exec, s[0:1]
	s_and_saveexec_b64 s[0:1], s[4:5]
	s_cbranch_execz .LBB0_40
.LBB0_72:                               ;   in Loop: Header=BB0_41 Depth=1
	.loc	1 35 21 is_stmt 1               ; layer_norm.py:35:21
	s_waitcnt vmcnt(0)
	v_sub_f32_e32 v5, v24, v6
	.loc	1 35 29 is_stmt 0               ; layer_norm.py:35:29
	v_mul_f32_e32 v5, v0, v5
	.loc	1 36 24 is_stmt 1               ; layer_norm.py:36:24
	v_fmac_f32_e32 v20, v7, v5
	.loc	1 37 21                         ; layer_norm.py:37:21
	v_lshl_add_u64 v[8:9], v[14:15], 2, s[10:11]
	.loc	1 37 27 is_stmt 0               ; layer_norm.py:37:27
	global_store_dword v[8:9], v20, off
	s_branch .LBB0_40
.LBB0_73:                               ; %._crit_edge10
	.loc	1 29 4 is_stmt 1                ; layer_norm.py:29:4
	s_endpgm
.Ltmp35:
	.section	.rodata,"a",@progbits
	.p2align	6, 0x0
	.amdhsa_kernel layer_norm_fwd_kernel
		.amdhsa_group_segment_fixed_size 0
		.amdhsa_private_segment_fixed_size 0
		.amdhsa_kernarg_size 80
		.amdhsa_user_sgpr_count 16
		.amdhsa_user_sgpr_dispatch_ptr 0
		.amdhsa_user_sgpr_queue_ptr 0
		.amdhsa_user_sgpr_kernarg_segment_ptr 1
		.amdhsa_user_sgpr_dispatch_id 0
		.amdhsa_user_sgpr_kernarg_preload_length 14
		.amdhsa_user_sgpr_kernarg_preload_offset 0
		.amdhsa_user_sgpr_private_segment_size 0
		.amdhsa_uses_dynamic_stack 0
		.amdhsa_enable_private_segment 0
		.amdhsa_system_sgpr_workgroup_id_x 1
		.amdhsa_system_sgpr_workgroup_id_y 0
		.amdhsa_system_sgpr_workgroup_id_z 0
		.amdhsa_system_sgpr_workgroup_info 0
		.amdhsa_system_vgpr_workitem_id 0
		.amdhsa_next_free_vgpr 30
		.amdhsa_next_free_sgpr 38
		.amdhsa_accum_offset 32
		.amdhsa_reserve_vcc 1
		.amdhsa_reserve_xnack_mask 1
		.amdhsa_float_round_mode_32 0
		.amdhsa_float_round_mode_16_64 0
		.amdhsa_float_denorm_mode_32 3
		.amdhsa_float_denorm_mode_16_64 3
		.amdhsa_dx10_clamp 1
		.amdhsa_ieee_mode 1
		.amdhsa_fp16_overflow 0
		.amdhsa_tg_split 0
		.amdhsa_exception_fp_ieee_invalid_op 0
		.amdhsa_exception_fp_denorm_src 0
		.amdhsa_exception_fp_ieee_div_zero 0
		.amdhsa_exception_fp_ieee_overflow 0
		.amdhsa_exception_fp_ieee_underflow 0
		.amdhsa_exception_fp_ieee_inexact 0
		.amdhsa_exception_int_div_zero 0
	.end_amdhsa_kernel
	.text
.Lfunc_end0:
	.size	layer_norm_fwd_kernel, .Lfunc_end0-layer_norm_fwd_kernel
	.cfi_endproc
                                        ; -- End function
	.set layer_norm_fwd_kernel.num_vgpr, 30
	.set layer_norm_fwd_kernel.num_agpr, 0
	.set layer_norm_fwd_kernel.numbered_sgpr, 38
	.set layer_norm_fwd_kernel.num_named_barrier, 0
	.set layer_norm_fwd_kernel.private_seg_size, 0
	.set layer_norm_fwd_kernel.uses_vcc, 1
	.set layer_norm_fwd_kernel.uses_flat_scratch, 0
	.set layer_norm_fwd_kernel.has_dyn_sized_stack, 0
	.set layer_norm_fwd_kernel.has_recursion, 0
	.set layer_norm_fwd_kernel.has_indirect_call, 0
	.section	.AMDGPU.csdata,"",@progbits
; Kernel info:
; codeLenInByte = 2584
; TotalNumSgprs: 44
; NumVgprs: 30
; NumAgprs: 0
; TotalNumVgprs: 30
; ScratchSize: 0
; MemoryBound: 0
; FloatMode: 240
; IeeeMode: 1
; LDSByteSize: 0 bytes/workgroup (compile time only)
; SGPRBlocks: 5
; VGPRBlocks: 3
; NumSGPRsForWavesPerEU: 44
; NumVGPRsForWavesPerEU: 30
; AccumOffset: 32
; Occupancy: 8
; WaveLimiterHint : 0
; COMPUTE_PGM_RSRC2:SCRATCH_EN: 0
; COMPUTE_PGM_RSRC2:USER_SGPR: 16
; COMPUTE_PGM_RSRC2:TRAP_HANDLER: 0
; COMPUTE_PGM_RSRC2:TGID_X_EN: 1
; COMPUTE_PGM_RSRC2:TGID_Y_EN: 0
; COMPUTE_PGM_RSRC2:TGID_Z_EN: 0
; COMPUTE_PGM_RSRC2:TIDIG_COMP_CNT: 0
; COMPUTE_PGM_RSRC3_GFX90A:ACCUM_OFFSET: 7
; COMPUTE_PGM_RSRC3_GFX90A:TG_SPLIT: 0
	.text
	.p2alignl 6, 3212836864
	.fill 256, 4, 3212836864
	.section	.AMDGPU.gpr_maximums,"",@progbits
	.set amdgpu.max_num_vgpr, 0
	.set amdgpu.max_num_agpr, 0
	.set amdgpu.max_num_sgpr, 0
	.set amdgpu.max_num_named_barrier, 0
	.text
	.section	.debug_abbrev,"",@progbits
	.byte	1                               ; Abbreviation Code
	.byte	17                              ; DW_TAG_compile_unit
	.byte	1                               ; DW_CHILDREN_yes
	.byte	37                              ; DW_AT_producer
	.byte	14                              ; DW_FORM_strp
	.byte	19                              ; DW_AT_language
	.byte	5                               ; DW_FORM_data2
	.byte	3                               ; DW_AT_name
	.byte	14                              ; DW_FORM_strp
	.byte	16                              ; DW_AT_stmt_list
	.byte	23                              ; DW_FORM_sec_offset
	.byte	27                              ; DW_AT_comp_dir
	.byte	14                              ; DW_FORM_strp
	.byte	17                              ; DW_AT_low_pc
	.byte	1                               ; DW_FORM_addr
	.byte	18                              ; DW_AT_high_pc
	.byte	6                               ; DW_FORM_data4
	.byte	0                               ; EOM(1)
	.byte	0                               ; EOM(2)
	.byte	2                               ; Abbreviation Code
	.byte	46                              ; DW_TAG_subprogram
	.byte	0                               ; DW_CHILDREN_no
	.byte	3                               ; DW_AT_name
	.byte	14                              ; DW_FORM_strp
	.byte	32                              ; DW_AT_inline
	.byte	11                              ; DW_FORM_data1
	.byte	0                               ; EOM(1)
	.byte	0                               ; EOM(2)
	.byte	3                               ; Abbreviation Code
	.byte	46                              ; DW_TAG_subprogram
	.byte	1                               ; DW_CHILDREN_yes
	.byte	17                              ; DW_AT_low_pc
	.byte	1                               ; DW_FORM_addr
	.byte	18                              ; DW_AT_high_pc
	.byte	6                               ; DW_FORM_data4
	.byte	49                              ; DW_AT_abstract_origin
	.byte	19                              ; DW_FORM_ref4
	.byte	0                               ; EOM(1)
	.byte	0                               ; EOM(2)
	.byte	4                               ; Abbreviation Code
	.byte	29                              ; DW_TAG_inlined_subroutine
	.byte	1                               ; DW_CHILDREN_yes
	.byte	49                              ; DW_AT_abstract_origin
	.byte	19                              ; DW_FORM_ref4
	.byte	85                              ; DW_AT_ranges
	.byte	23                              ; DW_FORM_sec_offset
	.byte	88                              ; DW_AT_call_file
	.byte	11                              ; DW_FORM_data1
	.byte	89                              ; DW_AT_call_line
	.byte	11                              ; DW_FORM_data1
	.byte	87                              ; DW_AT_call_column
	.byte	11                              ; DW_FORM_data1
	.byte	0                               ; EOM(1)
	.byte	0                               ; EOM(2)
	.byte	5                               ; Abbreviation Code
	.byte	29                              ; DW_TAG_inlined_subroutine
	.byte	0                               ; DW_CHILDREN_no
	.byte	49                              ; DW_AT_abstract_origin
	.byte	19                              ; DW_FORM_ref4
	.byte	85                              ; DW_AT_ranges
	.byte	23                              ; DW_FORM_sec_offset
	.byte	88                              ; DW_AT_call_file
	.byte	11                              ; DW_FORM_data1
	.byte	89                              ; DW_AT_call_line
	.byte	5                               ; DW_FORM_data2
	.byte	87                              ; DW_AT_call_column
	.byte	11                              ; DW_FORM_data1
	.byte	0                               ; EOM(1)
	.byte	0                               ; EOM(2)
	;; [unrolled: 1-line block ×3, first 2 shown]
	.section	.debug_info,"",@progbits
.Lcu_begin0:
	.long	.Ldebug_info_end0-.Ldebug_info_start0 ; Length of Unit
.Ldebug_info_start0:
	.short	4                               ; DWARF version number
	.long	.debug_abbrev                   ; Offset Into Abbrev. Section
	.byte	8                               ; Address Size (in bytes)
	.byte	1                               ; Abbrev [1] 0xb:0x6c DW_TAG_compile_unit
	.long	.Linfo_string0                  ; DW_AT_producer
	.short	2                               ; DW_AT_language
	.long	.Linfo_string1                  ; DW_AT_name
	.long	.Lline_table_start0             ; DW_AT_stmt_list
	.long	.Linfo_string2                  ; DW_AT_comp_dir
	.quad	.Lfunc_begin0                   ; DW_AT_low_pc
	.long	.Lfunc_end0-.Lfunc_begin0       ; DW_AT_high_pc
	.byte	2                               ; Abbrev [2] 0x2a:0x6 DW_TAG_subprogram
	.long	.Linfo_string3                  ; DW_AT_name
	.byte	1                               ; DW_AT_inline
	.byte	3                               ; Abbrev [3] 0x30:0x46 DW_TAG_subprogram
	.quad	.Lfunc_begin0                   ; DW_AT_low_pc
	.long	.Lfunc_end0-.Lfunc_begin0       ; DW_AT_high_pc
	.long	42                              ; DW_AT_abstract_origin
	.byte	4                               ; Abbrev [4] 0x41:0x1a DW_TAG_inlined_subroutine
	.long	42                              ; DW_AT_abstract_origin
	.long	.Ldebug_ranges0                 ; DW_AT_ranges
	.byte	1                               ; DW_AT_call_file
	.byte	18                              ; DW_AT_call_line
	.byte	18                              ; DW_AT_call_column
	.byte	5                               ; Abbrev [5] 0x4d:0xd DW_TAG_inlined_subroutine
	.long	42                              ; DW_AT_abstract_origin
	.long	.Ldebug_ranges1                 ; DW_AT_ranges
	.byte	2                               ; DW_AT_call_file
	.short	293                             ; DW_AT_call_line
	.byte	36                              ; DW_AT_call_column
	.byte	0                               ; End Of Children Mark
	.byte	4                               ; Abbrev [4] 0x5b:0x1a DW_TAG_inlined_subroutine
	.long	42                              ; DW_AT_abstract_origin
	.long	.Ldebug_ranges2                 ; DW_AT_ranges
	.byte	1                               ; DW_AT_call_file
	.byte	25                              ; DW_AT_call_line
	.byte	17                              ; DW_AT_call_column
	.byte	5                               ; Abbrev [5] 0x67:0xd DW_TAG_inlined_subroutine
	.long	42                              ; DW_AT_abstract_origin
	.long	.Ldebug_ranges3                 ; DW_AT_ranges
	.byte	2                               ; DW_AT_call_file
	.short	293                             ; DW_AT_call_line
	.byte	36                              ; DW_AT_call_column
	.byte	0                               ; End Of Children Mark
	.byte	0                               ; End Of Children Mark
	.byte	0                               ; End Of Children Mark
.Ldebug_info_end0:
	.section	.debug_ranges,"",@progbits
.Ldebug_ranges0:
	.quad	.Ltmp2-.Lfunc_begin0
	.quad	.Ltmp12-.Lfunc_begin0
	;; [unrolled: 1-line block ×6, first 2 shown]
	.quad	0
	.quad	0
.Ldebug_ranges1:
	.quad	.Ltmp2-.Lfunc_begin0
	.quad	.Ltmp3-.Lfunc_begin0
	;; [unrolled: 1-line block ×14, first 2 shown]
	.quad	0
	.quad	0
.Ldebug_ranges2:
	.quad	.Ltmp21-.Lfunc_begin0
	.quad	.Ltmp28-.Lfunc_begin0
	;; [unrolled: 1-line block ×4, first 2 shown]
	.quad	0
	.quad	0
.Ldebug_ranges3:
	.quad	.Ltmp22-.Lfunc_begin0
	.quad	.Ltmp23-.Lfunc_begin0
	;; [unrolled: 1-line block ×10, first 2 shown]
	.quad	0
	.quad	0
	.section	.debug_str,"MS",@progbits,1
.Linfo_string0:
	.asciz	"triton"                        ; string offset=0
.Linfo_string1:
	.asciz	"layer_norm.py"                 ; string offset=7
.Linfo_string2:
	.asciz	"/root/src/amdgpu-assembly/repos/triton-lang__triton-aot" ; string offset=21
.Linfo_string3:
	.asciz	"layer_norm_fwd_kernel"         ; string offset=77
	.section	".note.GNU-stack","",@progbits
	.amdgpu_metadata
---
amdhsa.kernels:
  - .agpr_count:     0
    .args:
      - .address_space:  global
        .offset:         0
        .size:           8
        .value_kind:     global_buffer
      - .address_space:  global
        .offset:         8
        .size:           8
        .value_kind:     global_buffer
      - .address_space:  global
        .offset:         16
        .size:           8
        .value_kind:     global_buffer
      - .address_space:  global
        .offset:         24
        .size:           8
        .value_kind:     global_buffer
      - .address_space:  global
        .offset:         32
        .size:           8
        .value_kind:     global_buffer
      - .address_space:  global
        .offset:         40
        .size:           8
        .value_kind:     global_buffer
      - .offset:         48
        .size:           4
        .value_kind:     by_value
      - .offset:         52
        .size:           4
        .value_kind:     by_value
      - .offset:         56
        .size:           4
        .value_kind:     by_value
      - .address_space:  global
        .offset:         64
        .size:           8
        .value_kind:     global_buffer
      - .address_space:  global
        .offset:         72
        .size:           8
        .value_kind:     global_buffer
    .group_segment_fixed_size: 0
    .kernarg_segment_align: 8
    .kernarg_segment_size: 80
    .max_flat_workgroup_size: 512
    .name:           layer_norm_fwd_kernel
    .private_segment_fixed_size: 0
    .sgpr_count:     44
    .sgpr_spill_count: 0
    .symbol:         layer_norm_fwd_kernel.kd
    .uniform_work_group_size: 1
    .uses_dynamic_stack: false
    .vgpr_count:     30
    .vgpr_spill_count: 0
    .wavefront_size: 64
amdhsa.target:   amdgcn-amd-amdhsa--gfx950
amdhsa.version:
  - 1
  - 2
...

	.end_amdgpu_metadata
	.section	.debug_line,"",@progbits
.Lline_table_start0:
